;; amdgpu-corpus repo=ROCm/rocFFT kind=compiled arch=gfx950 opt=O3
	.text
	.amdgcn_target "amdgcn-amd-amdhsa--gfx950"
	.amdhsa_code_object_version 6
	.protected	fft_rtc_fwd_len204_factors_17_4_3_wgs_119_tpt_17_halfLds_dp_ip_CI_unitstride_sbrr_dirReg ; -- Begin function fft_rtc_fwd_len204_factors_17_4_3_wgs_119_tpt_17_halfLds_dp_ip_CI_unitstride_sbrr_dirReg
	.globl	fft_rtc_fwd_len204_factors_17_4_3_wgs_119_tpt_17_halfLds_dp_ip_CI_unitstride_sbrr_dirReg
	.p2align	8
	.type	fft_rtc_fwd_len204_factors_17_4_3_wgs_119_tpt_17_halfLds_dp_ip_CI_unitstride_sbrr_dirReg,@function
fft_rtc_fwd_len204_factors_17_4_3_wgs_119_tpt_17_halfLds_dp_ip_CI_unitstride_sbrr_dirReg: ; @fft_rtc_fwd_len204_factors_17_4_3_wgs_119_tpt_17_halfLds_dp_ip_CI_unitstride_sbrr_dirReg
; %bb.0:
	s_load_dwordx2 s[8:9], s[0:1], 0x50
	s_load_dwordx4 s[4:7], s[0:1], 0x0
	s_load_dwordx2 s[10:11], s[0:1], 0x18
	v_mul_u32_u24_e32 v1, 0xf10, v0
	v_lshrrev_b32_e32 v2, 16, v1
	v_mad_u64_u32 v[68:69], s[2:3], s2, 7, v[2:3]
	v_mov_b32_e32 v4, 0
	v_mov_b32_e32 v69, v4
	s_waitcnt lgkmcnt(0)
	v_cmp_lt_u64_e64 s[2:3], s[6:7], 2
	s_and_b64 vcc, exec, s[2:3]
	v_mov_b64_e32 v[2:3], 0
	v_mov_b64_e32 v[8:9], v[68:69]
	s_cbranch_vccnz .LBB0_8
; %bb.1:
	s_load_dwordx2 s[2:3], s[0:1], 0x10
	s_add_u32 s12, s10, 8
	s_addc_u32 s13, s11, 0
	s_mov_b64 s[14:15], 1
	v_mov_b64_e32 v[2:3], 0
	s_waitcnt lgkmcnt(0)
	s_add_u32 s16, s2, 8
	s_addc_u32 s17, s3, 0
	v_mov_b64_e32 v[6:7], v[68:69]
.LBB0_2:                                ; =>This Inner Loop Header: Depth=1
	s_load_dwordx2 s[18:19], s[16:17], 0x0
                                        ; implicit-def: $vgpr8_vgpr9
	s_waitcnt lgkmcnt(0)
	v_or_b32_e32 v5, s19, v7
	v_cmp_ne_u64_e32 vcc, 0, v[4:5]
	s_and_saveexec_b64 s[2:3], vcc
	s_xor_b64 s[20:21], exec, s[2:3]
	s_cbranch_execz .LBB0_4
; %bb.3:                                ;   in Loop: Header=BB0_2 Depth=1
	v_cvt_f32_u32_e32 v1, s18
	v_cvt_f32_u32_e32 v5, s19
	s_sub_u32 s2, 0, s18
	s_subb_u32 s3, 0, s19
	v_fmac_f32_e32 v1, 0x4f800000, v5
	v_rcp_f32_e32 v1, v1
	s_nop 0
	v_mul_f32_e32 v1, 0x5f7ffffc, v1
	v_mul_f32_e32 v5, 0x2f800000, v1
	v_trunc_f32_e32 v5, v5
	v_fmac_f32_e32 v1, 0xcf800000, v5
	v_cvt_u32_f32_e32 v5, v5
	v_cvt_u32_f32_e32 v1, v1
	v_mul_lo_u32 v8, s2, v5
	v_mul_hi_u32 v10, s2, v1
	v_mul_lo_u32 v9, s3, v1
	v_add_u32_e32 v10, v10, v8
	v_mul_lo_u32 v12, s2, v1
	v_add_u32_e32 v13, v10, v9
	v_mul_hi_u32 v8, v1, v12
	v_mul_hi_u32 v11, v1, v13
	v_mul_lo_u32 v10, v1, v13
	v_mov_b32_e32 v9, v4
	v_lshl_add_u64 v[8:9], v[8:9], 0, v[10:11]
	v_mul_hi_u32 v11, v5, v12
	v_mul_lo_u32 v12, v5, v12
	v_add_co_u32_e32 v8, vcc, v8, v12
	v_mul_hi_u32 v10, v5, v13
	s_nop 0
	v_addc_co_u32_e32 v8, vcc, v9, v11, vcc
	v_mov_b32_e32 v9, v4
	s_nop 0
	v_addc_co_u32_e32 v11, vcc, 0, v10, vcc
	v_mul_lo_u32 v10, v5, v13
	v_lshl_add_u64 v[8:9], v[8:9], 0, v[10:11]
	v_add_co_u32_e32 v1, vcc, v1, v8
	v_mul_lo_u32 v10, s2, v1
	s_nop 0
	v_addc_co_u32_e32 v5, vcc, v5, v9, vcc
	v_mul_lo_u32 v8, s2, v5
	v_mul_hi_u32 v9, s2, v1
	v_add_u32_e32 v8, v9, v8
	v_mul_lo_u32 v9, s3, v1
	v_add_u32_e32 v12, v8, v9
	v_mul_hi_u32 v14, v5, v10
	v_mul_lo_u32 v15, v5, v10
	v_mul_hi_u32 v9, v1, v12
	v_mul_lo_u32 v8, v1, v12
	v_mul_hi_u32 v10, v1, v10
	v_mov_b32_e32 v11, v4
	v_lshl_add_u64 v[8:9], v[10:11], 0, v[8:9]
	v_add_co_u32_e32 v8, vcc, v8, v15
	v_mul_hi_u32 v13, v5, v12
	s_nop 0
	v_addc_co_u32_e32 v8, vcc, v9, v14, vcc
	v_mul_lo_u32 v10, v5, v12
	s_nop 0
	v_addc_co_u32_e32 v11, vcc, 0, v13, vcc
	v_mov_b32_e32 v9, v4
	v_lshl_add_u64 v[8:9], v[8:9], 0, v[10:11]
	v_add_co_u32_e32 v1, vcc, v1, v8
	v_mul_hi_u32 v10, v6, v1
	s_nop 0
	v_addc_co_u32_e32 v5, vcc, v5, v9, vcc
	v_mad_u64_u32 v[8:9], s[2:3], v6, v5, 0
	v_mov_b32_e32 v11, v4
	v_lshl_add_u64 v[8:9], v[10:11], 0, v[8:9]
	v_mad_u64_u32 v[12:13], s[2:3], v7, v1, 0
	v_add_co_u32_e32 v1, vcc, v8, v12
	v_mad_u64_u32 v[10:11], s[2:3], v7, v5, 0
	s_nop 0
	v_addc_co_u32_e32 v8, vcc, v9, v13, vcc
	v_mov_b32_e32 v9, v4
	s_nop 0
	v_addc_co_u32_e32 v11, vcc, 0, v11, vcc
	v_lshl_add_u64 v[8:9], v[8:9], 0, v[10:11]
	v_mul_lo_u32 v1, s19, v8
	v_mul_lo_u32 v5, s18, v9
	v_mad_u64_u32 v[10:11], s[2:3], s18, v8, 0
	v_add3_u32 v1, v11, v5, v1
	v_sub_u32_e32 v5, v7, v1
	v_mov_b32_e32 v11, s19
	v_sub_co_u32_e32 v14, vcc, v6, v10
	v_lshl_add_u64 v[12:13], v[8:9], 0, 1
	s_nop 0
	v_subb_co_u32_e64 v5, s[2:3], v5, v11, vcc
	v_subrev_co_u32_e64 v10, s[2:3], s18, v14
	v_subb_co_u32_e32 v1, vcc, v7, v1, vcc
	s_nop 0
	v_subbrev_co_u32_e64 v5, s[2:3], 0, v5, s[2:3]
	v_cmp_le_u32_e64 s[2:3], s19, v5
	v_cmp_le_u32_e32 vcc, s19, v1
	s_nop 0
	v_cndmask_b32_e64 v11, 0, -1, s[2:3]
	v_cmp_le_u32_e64 s[2:3], s18, v10
	s_nop 1
	v_cndmask_b32_e64 v10, 0, -1, s[2:3]
	v_cmp_eq_u32_e64 s[2:3], s19, v5
	s_nop 1
	v_cndmask_b32_e64 v5, v11, v10, s[2:3]
	v_lshl_add_u64 v[10:11], v[8:9], 0, 2
	v_cmp_ne_u32_e64 s[2:3], 0, v5
	s_nop 1
	v_cndmask_b32_e64 v5, v13, v11, s[2:3]
	v_cndmask_b32_e64 v11, 0, -1, vcc
	v_cmp_le_u32_e32 vcc, s18, v14
	s_nop 1
	v_cndmask_b32_e64 v13, 0, -1, vcc
	v_cmp_eq_u32_e32 vcc, s19, v1
	s_nop 1
	v_cndmask_b32_e32 v1, v11, v13, vcc
	v_cmp_ne_u32_e32 vcc, 0, v1
	v_cndmask_b32_e64 v1, v12, v10, s[2:3]
	s_nop 0
	v_cndmask_b32_e32 v9, v9, v5, vcc
	v_cndmask_b32_e32 v8, v8, v1, vcc
.LBB0_4:                                ;   in Loop: Header=BB0_2 Depth=1
	s_andn2_saveexec_b64 s[2:3], s[20:21]
	s_cbranch_execz .LBB0_6
; %bb.5:                                ;   in Loop: Header=BB0_2 Depth=1
	v_cvt_f32_u32_e32 v1, s18
	s_sub_i32 s20, 0, s18
	v_rcp_iflag_f32_e32 v1, v1
	s_nop 0
	v_mul_f32_e32 v1, 0x4f7ffffe, v1
	v_cvt_u32_f32_e32 v1, v1
	v_mul_lo_u32 v5, s20, v1
	v_mul_hi_u32 v5, v1, v5
	v_add_u32_e32 v1, v1, v5
	v_mul_hi_u32 v1, v6, v1
	v_mul_lo_u32 v5, v1, s18
	v_sub_u32_e32 v5, v6, v5
	v_add_u32_e32 v8, 1, v1
	v_subrev_u32_e32 v9, s18, v5
	v_cmp_le_u32_e32 vcc, s18, v5
	s_nop 1
	v_cndmask_b32_e32 v5, v5, v9, vcc
	v_cndmask_b32_e32 v1, v1, v8, vcc
	v_add_u32_e32 v8, 1, v1
	v_cmp_le_u32_e32 vcc, s18, v5
	v_mov_b32_e32 v9, v4
	s_nop 0
	v_cndmask_b32_e32 v8, v1, v8, vcc
.LBB0_6:                                ;   in Loop: Header=BB0_2 Depth=1
	s_or_b64 exec, exec, s[2:3]
	v_mad_u64_u32 v[10:11], s[2:3], v8, s18, 0
	s_load_dwordx2 s[2:3], s[12:13], 0x0
	v_mul_lo_u32 v1, v9, s18
	v_mul_lo_u32 v5, v8, s19
	v_add3_u32 v1, v11, v5, v1
	v_sub_co_u32_e32 v5, vcc, v6, v10
	s_add_u32 s14, s14, 1
	s_nop 0
	v_subb_co_u32_e32 v1, vcc, v7, v1, vcc
	s_addc_u32 s15, s15, 0
	s_waitcnt lgkmcnt(0)
	v_mul_lo_u32 v1, s2, v1
	v_mul_lo_u32 v6, s3, v5
	v_mad_u64_u32 v[2:3], s[2:3], s2, v5, v[2:3]
	s_add_u32 s12, s12, 8
	v_add3_u32 v3, v6, v3, v1
	s_addc_u32 s13, s13, 0
	v_mov_b64_e32 v[6:7], s[6:7]
	s_add_u32 s16, s16, 8
	v_cmp_ge_u64_e32 vcc, s[14:15], v[6:7]
	s_addc_u32 s17, s17, 0
	s_cbranch_vccnz .LBB0_8
; %bb.7:                                ;   in Loop: Header=BB0_2 Depth=1
	v_mov_b64_e32 v[6:7], v[8:9]
	s_branch .LBB0_2
.LBB0_8:
	s_lshl_b64 s[2:3], s[6:7], 3
	s_add_u32 s2, s10, s2
	s_addc_u32 s3, s11, s3
	s_load_dwordx2 s[6:7], s[2:3], 0x0
	s_load_dwordx2 s[10:11], s[0:1], 0x20
                                        ; implicit-def: $vgpr58_vgpr59
                                        ; implicit-def: $vgpr42_vgpr43
                                        ; implicit-def: $vgpr22_vgpr23
                                        ; implicit-def: $vgpr14_vgpr15
                                        ; implicit-def: $vgpr18_vgpr19
                                        ; implicit-def: $vgpr66_vgpr67
                                        ; implicit-def: $vgpr62_vgpr63
                                        ; implicit-def: $vgpr54_vgpr55
                                        ; implicit-def: $vgpr50_vgpr51
                                        ; implicit-def: $vgpr34_vgpr35
                                        ; implicit-def: $vgpr26_vgpr27
                                        ; implicit-def: $vgpr6_vgpr7
                                        ; implicit-def: $vgpr10_vgpr11
                                        ; implicit-def: $vgpr30_vgpr31
                                        ; implicit-def: $vgpr38_vgpr39
                                        ; implicit-def: $vgpr46_vgpr47
	s_waitcnt lgkmcnt(0)
	v_mad_u64_u32 v[2:3], s[0:1], s6, v8, v[2:3]
	v_mul_lo_u32 v1, s6, v9
	v_mul_lo_u32 v4, s7, v8
	s_mov_b32 s0, 0xf0f0f10
	v_add3_u32 v3, v4, v3, v1
	v_mul_hi_u32 v1, v0, s0
	v_mul_u32_u24_e32 v1, 17, v1
	v_sub_u32_e32 v88, v0, v1
	v_cmp_gt_u64_e32 vcc, s[10:11], v[8:9]
	v_cmp_gt_u32_e64 s[0:1], 12, v88
	s_and_b64 s[6:7], vcc, s[0:1]
	v_lshl_add_u64 v[90:91], v[2:3], 4, s[8:9]
                                        ; implicit-def: $vgpr2_vgpr3
	s_and_saveexec_b64 s[2:3], s[6:7]
	s_cbranch_execz .LBB0_10
; %bb.9:
	v_mov_b32_e32 v89, 0
	v_lshl_add_u64 v[70:71], v[88:89], 4, v[90:91]
	global_load_dwordx4 v[44:47], v[70:71], off
	global_load_dwordx4 v[56:59], v[70:71], off offset:192
	global_load_dwordx4 v[40:43], v[70:71], off offset:384
	;; [unrolled: 1-line block ×16, first 2 shown]
.LBB0_10:
	s_or_b64 exec, exec, s[2:3]
	s_mov_b32 s2, 0x24924925
	v_mul_hi_u32 v69, v68, s2
	v_sub_u32_e32 v70, v68, v69
	v_lshrrev_b32_e32 v70, 1, v70
	v_add_u32_e32 v69, v70, v69
	v_lshrrev_b32_e32 v69, 2, v69
	v_mul_lo_u32 v69, v69, 7
	v_sub_u32_e32 v68, v68, v69
	v_mul_u32_u24_e32 v68, 0xcc, v68
	v_lshlrev_b32_e32 v89, 3, v68
	s_and_saveexec_b64 s[2:3], s[0:1]
	s_cbranch_execz .LBB0_12
; %bb.11:
	s_mov_b32 s26, 0xacd6c6b4
	s_mov_b32 s38, 0x5d8e7cdc
	s_waitcnt vmcnt(0)
	v_add_f64 v[118:119], v[58:59], -v[66:67]
	s_mov_b32 s27, 0xbfc7851a
	s_mov_b32 s24, 0x7faef3
	;; [unrolled: 1-line block ×3, first 2 shown]
	v_add_f64 v[126:127], v[42:43], -v[62:63]
	s_mov_b32 s39, 0x3fd71e95
	s_mov_b32 s22, 0x370991
	v_add_f64 v[106:107], v[56:57], v[64:65]
	v_mul_f64 v[110:111], v[118:119], s[26:27]
	s_mov_b32 s25, 0xbfef7484
	s_mov_b32 s42, 0x2a9d6da3
	v_add_f64 v[104:105], v[38:39], -v[54:55]
	s_mov_b32 s21, 0xbfe0d888
	s_mov_b32 s18, 0x910ea3b9
	v_add_f64 v[102:103], v[40:41], v[60:61]
	v_mul_f64 v[108:109], v[126:127], s[38:39]
	s_mov_b32 s23, 0x3fedd6d0
	v_fma_f64 v[112:113], s[24:25], v[106:107], v[110:111]
	s_mov_b32 s14, 0x6c9a05f6
	v_add_f64 v[96:97], v[30:31], -v[50:51]
	s_mov_b32 s43, 0x3fe58eea
	s_mov_b32 s16, 0x75d4884
	v_add_f64 v[100:101], v[52:53], v[36:37]
	v_mul_f64 v[98:99], v[104:105], s[20:21]
	s_mov_b32 s19, 0xbfeb34fa
	v_fma_f64 v[68:69], s[22:23], v[102:103], v[108:109]
	v_add_f64 v[112:113], v[112:113], v[44:45]
	v_fma_f64 v[110:111], v[106:107], s[24:25], -v[110:111]
	s_mov_b32 s36, 0x7c9e640b
	v_add_f64 v[92:93], v[22:23], -v[34:35]
	s_mov_b32 s15, 0xbfe9895b
	s_mov_b32 s12, 0x6ed5f1bb
	v_add_f64 v[82:83], v[48:49], v[28:29]
	v_mul_f64 v[94:95], v[96:97], s[42:43]
	s_mov_b32 s17, 0x3fe7a5f6
	v_add_f64 v[68:69], v[68:69], v[112:113]
	v_fma_f64 v[112:113], s[18:19], v[100:101], v[98:99]
	v_fma_f64 v[108:109], v[102:103], s[22:23], -v[108:109]
	v_add_f64 v[110:111], v[110:111], v[44:45]
	s_mov_b32 s10, 0x923c349f
	v_add_f64 v[84:85], v[14:15], -v[26:27]
	s_mov_b32 s37, 0x3feca52d
	s_mov_b32 s8, 0x2b2883cd
	v_add_f64 v[80:81], v[20:21], v[32:33]
	v_mul_f64 v[86:87], v[92:93], s[14:15]
	s_mov_b32 s13, 0xbfe348c8
	v_add_f64 v[68:69], v[112:113], v[68:69]
	v_fma_f64 v[112:113], s[16:17], v[82:83], v[94:95]
	v_add_f64 v[108:109], v[108:109], v[110:111]
	v_fma_f64 v[98:99], v[100:101], s[18:19], -v[98:99]
	v_add_f64 v[78:79], v[10:11], -v[18:19]
	s_mov_b32 s11, 0xbfeec746
	s_mov_b32 s6, 0xc61f0d01
	v_add_f64 v[76:77], v[12:13], v[24:25]
	v_mul_f64 v[72:73], v[84:85], s[36:37]
	s_mov_b32 s9, 0x3fdc86fa
	v_add_f64 v[68:69], v[112:113], v[68:69]
	v_fma_f64 v[112:113], s[12:13], v[80:81], v[86:87]
	v_add_f64 v[98:99], v[98:99], v[108:109]
	v_fma_f64 v[94:95], v[82:83], s[16:17], -v[94:95]
	v_add_f64 v[74:75], v[16:17], v[8:9]
	v_mul_f64 v[70:71], v[78:79], s[10:11]
	s_mov_b32 s7, 0xbfd183b1
	v_add_f64 v[68:69], v[112:113], v[68:69]
	v_fma_f64 v[112:113], s[8:9], v[76:77], v[72:73]
	s_mov_b32 s46, 0xeb564b22
	v_fma_f64 v[86:87], v[80:81], s[12:13], -v[86:87]
	v_add_f64 v[94:95], v[94:95], v[98:99]
	v_add_f64 v[68:69], v[112:113], v[68:69]
	v_fma_f64 v[112:113], s[6:7], v[74:75], v[70:71]
	s_mov_b32 s47, 0x3fefdd0d
	s_mov_b32 s28, 0x3259b75e
	v_add_f64 v[116:117], v[6:7], -v[2:3]
	v_fma_f64 v[72:73], v[76:77], s[8:9], -v[72:73]
	v_add_f64 v[86:87], v[86:87], v[94:95]
	v_add_f64 v[68:69], v[112:113], v[68:69]
	;; [unrolled: 1-line block ×3, first 2 shown]
	s_mov_b32 s29, 0x3fb79ee6
	v_mul_f64 v[112:113], v[116:117], s[46:47]
	v_fma_f64 v[70:71], v[74:75], s[6:7], -v[70:71]
	v_add_f64 v[72:73], v[72:73], v[86:87]
	v_fma_f64 v[108:109], v[114:115], s[28:29], -v[112:113]
	v_add_f64 v[70:71], v[70:71], v[72:73]
	v_mul_f64 v[98:99], v[118:119], s[20:21]
	v_add_f64 v[70:71], v[108:109], v[70:71]
	s_mov_b32 s31, 0xbfefdd0d
	s_mov_b32 s30, s46
	v_mul_f64 v[94:95], v[126:127], s[36:37]
	v_fma_f64 v[108:109], s[18:19], v[106:107], v[98:99]
	v_mul_f64 v[86:87], v[104:105], s[30:31]
	v_fma_f64 v[72:73], s[8:9], v[102:103], v[94:95]
	v_add_f64 v[108:109], v[108:109], v[44:45]
	s_mov_b32 s51, 0x3fe9895b
	s_mov_b32 s50, s14
	v_add_f64 v[72:73], v[72:73], v[108:109]
	v_fma_f64 v[108:109], s[28:29], v[100:101], v[86:87]
	v_add_f64 v[72:73], v[108:109], v[72:73]
	v_mul_f64 v[108:109], v[96:97], s[50:51]
	v_fma_f64 v[110:111], s[12:13], v[82:83], v[108:109]
	s_mov_b32 s35, 0xbfd71e95
	s_mov_b32 s34, s38
	v_add_f64 v[72:73], v[110:111], v[72:73]
	v_mul_f64 v[110:111], v[92:93], s[34:35]
	v_fma_f64 v[98:99], v[106:107], s[18:19], -v[98:99]
	v_fma_f64 v[120:121], s[28:29], v[114:115], v[112:113]
	v_fma_f64 v[112:113], s[22:23], v[80:81], v[110:111]
	v_fma_f64 v[94:95], v[102:103], s[8:9], -v[94:95]
	v_add_f64 v[98:99], v[98:99], v[44:45]
	v_add_f64 v[72:73], v[112:113], v[72:73]
	v_mul_f64 v[112:113], v[84:85], s[26:27]
	v_add_f64 v[94:95], v[94:95], v[98:99]
	v_fma_f64 v[86:87], v[100:101], s[28:29], -v[86:87]
	v_add_f64 v[68:69], v[120:121], v[68:69]
	v_fma_f64 v[120:121], s[24:25], v[76:77], v[112:113]
	v_add_f64 v[86:87], v[86:87], v[94:95]
	v_fma_f64 v[94:95], v[82:83], s[12:13], -v[108:109]
	v_add_f64 v[72:73], v[120:121], v[72:73]
	v_mul_f64 v[120:121], v[78:79], s[42:43]
	v_add_f64 v[86:87], v[94:95], v[86:87]
	v_fma_f64 v[94:95], v[80:81], s[22:23], -v[110:111]
	v_fma_f64 v[122:123], s[16:17], v[74:75], v[120:121]
	v_add_f64 v[86:87], v[94:95], v[86:87]
	v_fma_f64 v[108:109], v[76:77], s[24:25], -v[112:113]
	v_add_f64 v[72:73], v[122:123], v[72:73]
	v_mul_f64 v[122:123], v[116:117], s[10:11]
	v_fma_f64 v[98:99], v[74:75], s[16:17], -v[120:121]
	v_add_f64 v[86:87], v[108:109], v[86:87]
	v_fma_f64 v[94:95], v[114:115], s[6:7], -v[122:123]
	v_add_f64 v[86:87], v[98:99], v[86:87]
	s_mov_b32 s49, 0x3feec746
	s_mov_b32 s48, s10
	v_mul_f64 v[108:109], v[118:119], s[14:15]
	v_add_f64 v[86:87], v[94:95], v[86:87]
	v_mul_f64 v[98:99], v[126:127], s[48:49]
	v_fma_f64 v[94:95], s[12:13], v[106:107], v[108:109]
	v_add_f64 v[94:95], v[94:95], v[44:45]
	v_fma_f64 v[110:111], s[6:7], v[102:103], v[98:99]
	v_add_f64 v[94:95], v[110:111], v[94:95]
	v_mul_f64 v[110:111], v[104:105], s[34:35]
	v_fma_f64 v[112:113], s[22:23], v[100:101], v[110:111]
	v_add_f64 v[94:95], v[112:113], v[94:95]
	v_mul_f64 v[112:113], v[96:97], s[20:21]
	;; [unrolled: 3-line block ×3, first 2 shown]
	v_fma_f64 v[108:109], v[106:107], s[12:13], -v[108:109]
	v_fma_f64 v[124:125], s[6:7], v[114:115], v[122:123]
	v_fma_f64 v[122:123], s[28:29], v[80:81], v[120:121]
	s_mov_b32 s45, 0xbfe58eea
	s_mov_b32 s44, s42
	v_fma_f64 v[98:99], v[102:103], s[6:7], -v[98:99]
	v_add_f64 v[108:109], v[108:109], v[44:45]
	v_add_f64 v[94:95], v[122:123], v[94:95]
	v_mul_f64 v[122:123], v[84:85], s[44:45]
	v_add_f64 v[98:99], v[98:99], v[108:109]
	v_fma_f64 v[108:109], v[100:101], s[22:23], -v[110:111]
	v_add_f64 v[72:73], v[124:125], v[72:73]
	v_fma_f64 v[124:125], s[16:17], v[76:77], v[122:123]
	v_add_f64 v[98:99], v[108:109], v[98:99]
	v_fma_f64 v[108:109], v[82:83], s[18:19], -v[112:113]
	v_add_f64 v[94:95], v[124:125], v[94:95]
	v_mul_f64 v[124:125], v[78:79], s[26:27]
	v_add_f64 v[98:99], v[108:109], v[98:99]
	v_fma_f64 v[108:109], v[80:81], s[28:29], -v[120:121]
	v_fma_f64 v[128:129], s[24:25], v[74:75], v[124:125]
	v_add_f64 v[98:99], v[108:109], v[98:99]
	v_fma_f64 v[108:109], v[76:77], s[16:17], -v[122:123]
	v_add_f64 v[94:95], v[128:129], v[94:95]
	v_mul_f64 v[128:129], v[116:117], s[36:37]
	v_add_f64 v[98:99], v[108:109], v[98:99]
	v_fma_f64 v[108:109], v[74:75], s[24:25], -v[124:125]
	v_add_f64 v[98:99], v[108:109], v[98:99]
	v_fma_f64 v[108:109], v[114:115], s[8:9], -v[128:129]
	v_add_f64 v[110:111], v[108:109], v[98:99]
	s_mov_b32 s53, 0x3fe0d888
	s_mov_b32 s52, s20
	v_mul_f64 v[108:109], v[118:119], s[10:11]
	v_fma_f64 v[98:99], s[6:7], v[106:107], v[108:109]
	v_mul_f64 v[112:113], v[126:127], s[52:53]
	v_add_f64 v[98:99], v[98:99], v[44:45]
	v_fma_f64 v[120:121], s[18:19], v[102:103], v[112:113]
	v_add_f64 v[98:99], v[120:121], v[98:99]
	v_mul_f64 v[120:121], v[104:105], s[42:43]
	v_fma_f64 v[122:123], s[16:17], v[100:101], v[120:121]
	s_mov_b32 s41, 0xbfeca52d
	s_mov_b32 s40, s36
	v_add_f64 v[98:99], v[122:123], v[98:99]
	v_mul_f64 v[122:123], v[96:97], s[40:41]
	v_fma_f64 v[124:125], s[8:9], v[82:83], v[122:123]
	v_add_f64 v[98:99], v[124:125], v[98:99]
	v_mul_f64 v[124:125], v[92:93], s[26:27]
	v_fma_f64 v[108:109], v[106:107], s[6:7], -v[108:109]
	v_fma_f64 v[130:131], s[8:9], v[114:115], v[128:129]
	v_fma_f64 v[128:129], s[24:25], v[80:81], v[124:125]
	v_fma_f64 v[112:113], v[102:103], s[18:19], -v[112:113]
	v_add_f64 v[108:109], v[108:109], v[44:45]
	v_add_f64 v[98:99], v[128:129], v[98:99]
	v_mul_f64 v[128:129], v[84:85], s[46:47]
	v_add_f64 v[108:109], v[112:113], v[108:109]
	v_fma_f64 v[112:113], v[100:101], s[16:17], -v[120:121]
	v_add_f64 v[94:95], v[130:131], v[94:95]
	v_fma_f64 v[130:131], s[28:29], v[76:77], v[128:129]
	v_add_f64 v[108:109], v[112:113], v[108:109]
	v_fma_f64 v[112:113], v[82:83], s[8:9], -v[122:123]
	v_add_f64 v[98:99], v[130:131], v[98:99]
	v_mul_f64 v[130:131], v[78:79], s[34:35]
	v_add_f64 v[108:109], v[112:113], v[108:109]
	v_fma_f64 v[112:113], v[80:81], s[24:25], -v[124:125]
	v_fma_f64 v[132:133], s[22:23], v[74:75], v[130:131]
	v_add_f64 v[108:109], v[112:113], v[108:109]
	v_fma_f64 v[112:113], v[76:77], s[28:29], -v[128:129]
	v_add_f64 v[98:99], v[132:133], v[98:99]
	v_mul_f64 v[132:133], v[116:117], s[14:15]
	v_add_f64 v[108:109], v[112:113], v[108:109]
	v_fma_f64 v[112:113], v[74:75], s[22:23], -v[130:131]
	v_add_f64 v[108:109], v[112:113], v[108:109]
	v_fma_f64 v[112:113], v[114:115], s[12:13], -v[132:133]
	v_add_f64 v[122:123], v[112:113], v[108:109]
	v_mul_f64 v[112:113], v[118:119], s[30:31]
	v_fma_f64 v[108:109], s[28:29], v[106:107], v[112:113]
	v_mul_f64 v[120:121], v[126:127], s[26:27]
	v_add_f64 v[108:109], v[108:109], v[44:45]
	v_fma_f64 v[124:125], s[24:25], v[102:103], v[120:121]
	v_add_f64 v[108:109], v[124:125], v[108:109]
	v_mul_f64 v[124:125], v[104:105], s[48:49]
	v_fma_f64 v[128:129], s[6:7], v[100:101], v[124:125]
	v_add_f64 v[108:109], v[128:129], v[108:109]
	v_mul_f64 v[128:129], v[96:97], s[38:39]
	;; [unrolled: 3-line block ×3, first 2 shown]
	v_fma_f64 v[112:113], v[106:107], s[28:29], -v[112:113]
	v_fma_f64 v[134:135], s[12:13], v[114:115], v[132:133]
	v_fma_f64 v[132:133], s[8:9], v[80:81], v[130:131]
	v_fma_f64 v[120:121], v[102:103], s[24:25], -v[120:121]
	v_add_f64 v[112:113], v[112:113], v[44:45]
	v_add_f64 v[108:109], v[132:133], v[108:109]
	v_mul_f64 v[132:133], v[84:85], s[20:21]
	v_add_f64 v[112:113], v[120:121], v[112:113]
	v_fma_f64 v[120:121], v[100:101], s[6:7], -v[124:125]
	v_add_f64 v[98:99], v[134:135], v[98:99]
	v_fma_f64 v[134:135], s[18:19], v[76:77], v[132:133]
	v_add_f64 v[112:113], v[120:121], v[112:113]
	v_fma_f64 v[120:121], v[82:83], s[22:23], -v[128:129]
	v_add_f64 v[108:109], v[134:135], v[108:109]
	v_mul_f64 v[134:135], v[78:79], s[50:51]
	v_add_f64 v[112:113], v[120:121], v[112:113]
	v_fma_f64 v[120:121], v[80:81], s[8:9], -v[130:131]
	v_fma_f64 v[136:137], s[12:13], v[74:75], v[134:135]
	v_add_f64 v[112:113], v[120:121], v[112:113]
	v_fma_f64 v[120:121], v[76:77], s[18:19], -v[132:133]
	v_add_f64 v[108:109], v[136:137], v[108:109]
	v_mul_f64 v[136:137], v[116:117], s[42:43]
	v_add_f64 v[112:113], v[120:121], v[112:113]
	v_fma_f64 v[120:121], v[74:75], s[12:13], -v[134:135]
	v_add_f64 v[112:113], v[120:121], v[112:113]
	v_fma_f64 v[120:121], v[114:115], s[16:17], -v[136:137]
	v_add_f64 v[124:125], v[120:121], v[112:113]
	v_mul_f64 v[120:121], v[118:119], s[40:41]
	v_fma_f64 v[112:113], s[8:9], v[106:107], v[120:121]
	v_mul_f64 v[128:129], v[126:127], s[14:15]
	v_add_f64 v[112:113], v[112:113], v[44:45]
	v_fma_f64 v[130:131], s[12:13], v[102:103], v[128:129]
	s_mov_b32 s47, 0x3fc7851a
	s_mov_b32 s46, s26
	v_add_f64 v[112:113], v[130:131], v[112:113]
	v_mul_f64 v[130:131], v[104:105], s[46:47]
	v_fma_f64 v[132:133], s[24:25], v[100:101], v[130:131]
	v_add_f64 v[112:113], v[132:133], v[112:113]
	v_mul_f64 v[132:133], v[96:97], s[48:49]
	v_fma_f64 v[134:135], s[6:7], v[82:83], v[132:133]
	v_add_f64 v[112:113], v[134:135], v[112:113]
	v_mul_f64 v[134:135], v[92:93], s[42:43]
	v_fma_f64 v[120:121], v[106:107], s[8:9], -v[120:121]
	v_fma_f64 v[138:139], s[16:17], v[114:115], v[136:137]
	v_fma_f64 v[136:137], s[16:17], v[80:81], v[134:135]
	v_fma_f64 v[128:129], v[102:103], s[12:13], -v[128:129]
	v_add_f64 v[120:121], v[120:121], v[44:45]
	v_add_f64 v[112:113], v[136:137], v[112:113]
	v_mul_f64 v[136:137], v[84:85], s[34:35]
	v_add_f64 v[120:121], v[128:129], v[120:121]
	v_fma_f64 v[128:129], v[100:101], s[24:25], -v[130:131]
	v_add_f64 v[108:109], v[138:139], v[108:109]
	v_fma_f64 v[138:139], s[22:23], v[76:77], v[136:137]
	v_add_f64 v[120:121], v[128:129], v[120:121]
	v_fma_f64 v[128:129], v[82:83], s[6:7], -v[132:133]
	v_add_f64 v[112:113], v[138:139], v[112:113]
	v_mul_f64 v[138:139], v[78:79], s[30:31]
	v_add_f64 v[120:121], v[128:129], v[120:121]
	v_fma_f64 v[128:129], v[80:81], s[16:17], -v[134:135]
	v_fma_f64 v[140:141], s[28:29], v[74:75], v[138:139]
	v_add_f64 v[120:121], v[128:129], v[120:121]
	v_fma_f64 v[128:129], v[76:77], s[22:23], -v[136:137]
	v_add_f64 v[112:113], v[140:141], v[112:113]
	v_mul_f64 v[140:141], v[116:117], s[20:21]
	v_add_f64 v[120:121], v[128:129], v[120:121]
	v_fma_f64 v[128:129], v[74:75], s[28:29], -v[138:139]
	v_add_f64 v[120:121], v[128:129], v[120:121]
	v_fma_f64 v[128:129], v[114:115], s[18:19], -v[140:141]
	v_mul_f64 v[130:131], v[118:119], s[44:45]
	v_add_f64 v[128:129], v[128:129], v[120:121]
	v_fma_f64 v[120:121], s[16:17], v[106:107], v[130:131]
	v_mul_f64 v[132:133], v[126:127], s[30:31]
	v_add_f64 v[120:121], v[120:121], v[44:45]
	v_fma_f64 v[134:135], s[28:29], v[102:103], v[132:133]
	v_add_f64 v[120:121], v[134:135], v[120:121]
	v_mul_f64 v[134:135], v[104:105], s[14:15]
	v_fma_f64 v[136:137], s[12:13], v[100:101], v[134:135]
	v_add_f64 v[120:121], v[136:137], v[120:121]
	v_mul_f64 v[136:137], v[96:97], s[26:27]
	;; [unrolled: 3-line block ×3, first 2 shown]
	v_fma_f64 v[130:131], v[106:107], s[16:17], -v[130:131]
	v_fma_f64 v[142:143], s[18:19], v[114:115], v[140:141]
	v_fma_f64 v[140:141], s[18:19], v[80:81], v[138:139]
	v_fma_f64 v[132:133], v[102:103], s[28:29], -v[132:133]
	v_add_f64 v[130:131], v[130:131], v[44:45]
	v_add_f64 v[120:121], v[140:141], v[120:121]
	v_mul_f64 v[140:141], v[84:85], s[48:49]
	v_add_f64 v[130:131], v[132:133], v[130:131]
	v_fma_f64 v[132:133], v[100:101], s[12:13], -v[134:135]
	v_add_f64 v[112:113], v[142:143], v[112:113]
	v_fma_f64 v[142:143], s[6:7], v[76:77], v[140:141]
	v_add_f64 v[130:131], v[132:133], v[130:131]
	v_fma_f64 v[132:133], v[82:83], s[24:25], -v[136:137]
	v_add_f64 v[120:121], v[142:143], v[120:121]
	v_mul_f64 v[142:143], v[78:79], s[36:37]
	v_add_f64 v[130:131], v[132:133], v[130:131]
	v_fma_f64 v[132:133], v[80:81], s[18:19], -v[138:139]
	v_fma_f64 v[144:145], s[8:9], v[74:75], v[142:143]
	v_add_f64 v[130:131], v[132:133], v[130:131]
	v_fma_f64 v[132:133], v[76:77], s[6:7], -v[140:141]
	v_add_f64 v[120:121], v[144:145], v[120:121]
	v_mul_f64 v[144:145], v[116:117], s[38:39]
	v_add_f64 v[130:131], v[132:133], v[130:131]
	v_fma_f64 v[132:133], v[74:75], s[8:9], -v[142:143]
	v_add_f64 v[130:131], v[132:133], v[130:131]
	v_fma_f64 v[132:133], v[114:115], s[22:23], -v[144:145]
	v_mul_f64 v[118:119], v[118:119], s[34:35]
	v_add_f64 v[130:131], v[132:133], v[130:131]
	v_mul_f64 v[126:127], v[126:127], s[44:45]
	v_fma_f64 v[132:133], s[22:23], v[106:107], v[118:119]
	v_add_f64 v[132:133], v[132:133], v[44:45]
	v_fma_f64 v[134:135], s[16:17], v[102:103], v[126:127]
	v_mul_f64 v[104:105], v[104:105], s[40:41]
	v_add_f64 v[132:133], v[134:135], v[132:133]
	v_fma_f64 v[134:135], s[8:9], v[100:101], v[104:105]
	v_mul_f64 v[96:97], v[96:97], s[30:31]
	v_add_f64 v[132:133], v[134:135], v[132:133]
	v_fma_f64 v[134:135], s[28:29], v[82:83], v[96:97]
	v_fma_f64 v[82:83], v[82:83], s[28:29], -v[96:97]
	v_fma_f64 v[96:97], v[106:107], s[22:23], -v[118:119]
	v_add_f64 v[96:97], v[96:97], v[44:45]
	v_add_f64 v[44:45], v[56:57], v[44:45]
	;; [unrolled: 1-line block ×8, first 2 shown]
	v_mul_f64 v[92:93], v[92:93], s[10:11]
	v_add_f64 v[44:45], v[4:5], v[44:45]
	v_add_f64 v[132:133], v[134:135], v[132:133]
	v_fma_f64 v[134:135], s[6:7], v[80:81], v[92:93]
	v_mul_f64 v[84:85], v[84:85], s[14:15]
	v_fma_f64 v[80:81], v[80:81], s[6:7], -v[92:93]
	v_fma_f64 v[92:93], v[102:103], s[16:17], -v[126:127]
	v_add_f64 v[44:45], v[0:1], v[44:45]
	v_add_f64 v[132:133], v[134:135], v[132:133]
	v_fma_f64 v[134:135], s[12:13], v[76:77], v[84:85]
	v_fma_f64 v[76:77], v[76:77], s[12:13], -v[84:85]
	v_fma_f64 v[84:85], v[100:101], s[8:9], -v[104:105]
	v_add_f64 v[92:93], v[92:93], v[96:97]
	v_add_f64 v[44:45], v[16:17], v[44:45]
	;; [unrolled: 1-line block ×7, first 2 shown]
	v_mul_f64 v[134:135], v[78:79], s[20:21]
	v_add_f64 v[80:81], v[80:81], v[82:83]
	v_add_f64 v[44:45], v[48:49], v[44:45]
	v_fma_f64 v[78:79], s[18:19], v[74:75], v[134:135]
	v_mul_f64 v[116:117], v[116:117], s[26:27]
	v_fma_f64 v[74:75], v[74:75], s[18:19], -v[134:135]
	v_add_f64 v[76:77], v[76:77], v[80:81]
	v_add_f64 v[44:45], v[52:53], v[44:45]
	v_fma_f64 v[146:147], s[22:23], v[114:115], v[144:145]
	v_add_f64 v[78:79], v[78:79], v[132:133]
	v_fma_f64 v[132:133], s[24:25], v[114:115], v[116:117]
	v_fma_f64 v[114:115], v[114:115], s[24:25], -v[116:117]
	v_add_f64 v[74:75], v[74:75], v[76:77]
	v_add_f64 v[44:45], v[60:61], v[44:45]
	v_mul_u32_u24_e32 v76, 0x88, v88
	v_add_f64 v[74:75], v[114:115], v[74:75]
	v_add_f64 v[44:45], v[64:65], v[44:45]
	v_add3_u32 v76, 0, v76, v89
	v_add_f64 v[120:121], v[146:147], v[120:121]
	v_add_f64 v[78:79], v[132:133], v[78:79]
	ds_write2_b64 v76, v[44:45], v[74:75] offset1:1
	ds_write2_b64 v76, v[130:131], v[128:129] offset0:2 offset1:3
	ds_write2_b64 v76, v[124:125], v[122:123] offset0:4 offset1:5
	;; [unrolled: 1-line block ×7, first 2 shown]
	ds_write_b64 v76, v[78:79] offset:128
.LBB0_12:
	s_or_b64 exec, exec, s[2:3]
	s_waitcnt vmcnt(16)
	v_lshlrev_b32_e32 v44, 3, v88
	v_add_u32_e32 v98, 0, v44
	v_add_u32_e32 v97, v98, v89
	s_waitcnt lgkmcnt(0)
	s_barrier
	v_add3_u32 v96, 0, v89, v44
	ds_read2_b64 v[84:87], v97 offset0:51 offset1:68
	ds_read2_b64 v[72:75], v97 offset0:85 offset1:102
	ds_read2_b64 v[80:83], v97 offset0:153 offset1:170
	ds_read2_b64 v[68:71], v97 offset0:17 offset1:34
	ds_read2_b64 v[76:79], v97 offset0:119 offset1:136
	ds_read_b64 v[92:93], v96
	ds_read_b64 v[44:45], v97 offset:1496
	s_waitcnt lgkmcnt(0)
	s_barrier
	s_and_saveexec_b64 s[2:3], s[0:1]
	s_cbranch_execz .LBB0_14
; %bb.13:
	s_waitcnt vmcnt(15)
	v_add_f64 v[94:95], v[58:59], v[46:47]
	s_waitcnt vmcnt(14)
	v_add_f64 v[94:95], v[42:43], v[94:95]
	;; [unrolled: 2-line block ×13, first 2 shown]
	s_mov_b32 s16, 0x5d8e7cdc
	s_mov_b32 s22, 0x2a9d6da3
	;; [unrolled: 1-line block ×8, first 2 shown]
	s_waitcnt vmcnt(2)
	v_add_f64 v[94:95], v[54:55], v[94:95]
	s_waitcnt vmcnt(0)
	v_add_f64 v[56:57], v[56:57], -v[64:65]
	s_mov_b32 s17, 0xbfd71e95
	s_mov_b32 s10, 0x370991
	;; [unrolled: 1-line block ×16, first 2 shown]
	v_add_f64 v[94:95], v[62:63], v[94:95]
	v_add_f64 v[58:59], v[58:59], v[66:67]
	v_mul_f64 v[64:65], v[56:57], s[16:17]
	s_mov_b32 s11, 0x3fedd6d0
	v_mul_f64 v[100:101], v[56:57], s[22:23]
	s_mov_b32 s9, 0x3fe7a5f6
	v_mul_f64 v[104:105], v[56:57], s[38:39]
	s_mov_b32 s7, 0x3fdc86fa
	v_mul_f64 v[108:109], v[56:57], s[28:29]
	s_mov_b32 s1, 0x3fb79ee6
	v_mul_f64 v[112:113], v[56:57], s[12:13]
	s_mov_b32 s15, 0xbfd183b1
	v_mul_f64 v[116:117], v[56:57], s[18:19]
	s_mov_b32 s21, 0xbfe348c8
	v_mul_f64 v[120:121], v[56:57], s[24:25]
	s_mov_b32 s27, 0xbfeb34fa
	v_mul_f64 v[56:57], v[56:57], s[30:31]
	s_mov_b32 s35, 0xbfef7484
	v_add_f64 v[94:95], v[66:67], v[94:95]
	v_fma_f64 v[66:67], s[10:11], v[58:59], v[64:65]
	v_fma_f64 v[64:65], v[58:59], s[10:11], -v[64:65]
	v_fma_f64 v[102:103], s[8:9], v[58:59], v[100:101]
	v_fma_f64 v[100:101], v[58:59], s[8:9], -v[100:101]
	;; [unrolled: 2-line block ×8, first 2 shown]
	v_add_f64 v[40:41], v[40:41], -v[60:61]
	v_add_f64 v[66:67], v[66:67], v[46:47]
	v_add_f64 v[64:65], v[64:65], v[46:47]
	;; [unrolled: 1-line block ×17, first 2 shown]
	v_mul_f64 v[56:57], v[40:41], s[22:23]
	v_fma_f64 v[58:59], s[8:9], v[42:43], v[56:57]
	v_fma_f64 v[56:57], v[42:43], s[8:9], -v[56:57]
	v_mul_f64 v[60:61], v[40:41], s[28:29]
	v_add_f64 v[56:57], v[56:57], v[64:65]
	v_fma_f64 v[62:63], s[0:1], v[42:43], v[60:61]
	v_fma_f64 v[60:61], v[42:43], s[0:1], -v[60:61]
	v_mul_f64 v[64:65], v[40:41], s[18:19]
	v_add_f64 v[58:59], v[58:59], v[66:67]
	v_add_f64 v[60:61], v[60:61], v[100:101]
	v_fma_f64 v[66:67], s[20:21], v[42:43], v[64:65]
	v_fma_f64 v[64:65], v[42:43], s[20:21], -v[64:65]
	v_mul_f64 v[100:101], v[40:41], s[30:31]
	s_mov_b32 s47, 0x3fe0d888
	s_mov_b32 s46, s24
	v_add_f64 v[62:63], v[62:63], v[102:103]
	v_add_f64 v[64:65], v[64:65], v[104:105]
	v_fma_f64 v[102:103], s[34:35], v[42:43], v[100:101]
	v_fma_f64 v[100:101], v[42:43], s[34:35], -v[100:101]
	v_mul_f64 v[104:105], v[40:41], s[46:47]
	s_mov_b32 s45, 0x3feec746
	s_mov_b32 s44, s12
	;; [unrolled: 7-line block ×3, first 2 shown]
	s_mov_b32 s41, 0x3fd71e95
	s_mov_b32 s40, s16
	v_add_f64 v[102:103], v[102:103], v[110:111]
	v_add_f64 v[104:105], v[104:105], v[112:113]
	v_fma_f64 v[110:111], s[14:15], v[42:43], v[108:109]
	v_fma_f64 v[108:109], v[42:43], s[14:15], -v[108:109]
	v_mul_f64 v[112:113], v[40:41], s[36:37]
	v_mul_f64 v[40:41], v[40:41], s[40:41]
	v_add_f64 v[36:37], v[36:37], -v[52:53]
	v_add_f64 v[106:107], v[106:107], v[114:115]
	v_add_f64 v[108:109], v[108:109], v[116:117]
	v_fma_f64 v[114:115], s[6:7], v[42:43], v[112:113]
	v_fma_f64 v[112:113], v[42:43], s[6:7], -v[112:113]
	v_fma_f64 v[116:117], s[10:11], v[42:43], v[40:41]
	v_fma_f64 v[40:41], v[42:43], s[10:11], -v[40:41]
	v_add_f64 v[38:39], v[54:55], v[38:39]
	v_mul_f64 v[42:43], v[36:37], s[38:39]
	v_add_f64 v[40:41], v[40:41], v[46:47]
	v_fma_f64 v[46:47], s[6:7], v[38:39], v[42:43]
	v_fma_f64 v[42:43], v[38:39], s[6:7], -v[42:43]
	v_mul_f64 v[52:53], v[36:37], s[18:19]
	s_mov_b32 s43, 0x3fc7851a
	s_mov_b32 s42, s30
	v_add_f64 v[42:43], v[42:43], v[56:57]
	v_fma_f64 v[54:55], s[20:21], v[38:39], v[52:53]
	v_fma_f64 v[52:53], v[38:39], s[20:21], -v[52:53]
	v_mul_f64 v[56:57], v[36:37], s[42:43]
	v_add_f64 v[46:47], v[46:47], v[58:59]
	v_add_f64 v[52:53], v[52:53], v[60:61]
	v_fma_f64 v[58:59], s[34:35], v[38:39], v[56:57]
	v_fma_f64 v[56:57], v[38:39], s[34:35], -v[56:57]
	v_mul_f64 v[60:61], v[36:37], s[44:45]
	s_mov_b32 s43, 0x3fe58eea
	s_mov_b32 s42, s22
	v_add_f64 v[54:55], v[54:55], v[62:63]
	v_add_f64 v[56:57], v[56:57], v[64:65]
	v_fma_f64 v[62:63], s[14:15], v[38:39], v[60:61]
	v_fma_f64 v[60:61], v[38:39], s[14:15], -v[60:61]
	v_mul_f64 v[64:65], v[36:37], s[42:43]
	v_add_f64 v[58:59], v[58:59], v[66:67]
	v_add_f64 v[60:61], v[60:61], v[100:101]
	v_fma_f64 v[66:67], s[8:9], v[38:39], v[64:65]
	v_fma_f64 v[64:65], v[38:39], s[8:9], -v[64:65]
	v_mul_f64 v[100:101], v[36:37], s[16:17]
	;; [unrolled: 5-line block ×3, first 2 shown]
	v_mul_f64 v[36:37], v[36:37], s[24:25]
	v_add_f64 v[28:29], v[28:29], -v[48:49]
	v_add_f64 v[66:67], v[66:67], v[106:107]
	v_add_f64 v[100:101], v[100:101], v[108:109]
	v_fma_f64 v[106:107], s[0:1], v[38:39], v[104:105]
	v_fma_f64 v[104:105], v[38:39], s[0:1], -v[104:105]
	v_fma_f64 v[108:109], s[26:27], v[38:39], v[36:37]
	v_fma_f64 v[36:37], v[38:39], s[26:27], -v[36:37]
	v_add_f64 v[30:31], v[50:51], v[30:31]
	v_mul_f64 v[38:39], v[28:29], s[28:29]
	v_add_f64 v[36:37], v[36:37], v[40:41]
	v_fma_f64 v[40:41], s[0:1], v[30:31], v[38:39]
	v_fma_f64 v[38:39], v[30:31], s[0:1], -v[38:39]
	v_add_f64 v[38:39], v[38:39], v[42:43]
	v_mul_f64 v[42:43], v[28:29], s[30:31]
	v_add_f64 v[40:41], v[40:41], v[46:47]
	v_fma_f64 v[46:47], s[34:35], v[30:31], v[42:43]
	v_fma_f64 v[42:43], v[30:31], s[34:35], -v[42:43]
	v_mul_f64 v[48:49], v[28:29], s[44:45]
	v_add_f64 v[42:43], v[42:43], v[52:53]
	v_fma_f64 v[50:51], s[14:15], v[30:31], v[48:49]
	v_fma_f64 v[48:49], v[30:31], s[14:15], -v[48:49]
	v_mul_f64 v[52:53], v[28:29], s[40:41]
	v_add_f64 v[46:47], v[46:47], v[54:55]
	v_add_f64 v[48:49], v[48:49], v[56:57]
	v_fma_f64 v[54:55], s[10:11], v[30:31], v[52:53]
	v_fma_f64 v[52:53], v[30:31], s[10:11], -v[52:53]
	v_mul_f64 v[56:57], v[28:29], s[38:39]
	v_add_f64 v[50:51], v[50:51], v[58:59]
	v_add_f64 v[52:53], v[52:53], v[60:61]
	v_fma_f64 v[58:59], s[6:7], v[30:31], v[56:57]
	v_fma_f64 v[56:57], v[30:31], s[6:7], -v[56:57]
	v_mul_f64 v[60:61], v[28:29], s[24:25]
	s_mov_b32 s49, 0x3fe9895b
	s_mov_b32 s48, s18
	v_add_f64 v[54:55], v[54:55], v[62:63]
	v_add_f64 v[56:57], v[56:57], v[64:65]
	v_fma_f64 v[62:63], s[26:27], v[30:31], v[60:61]
	v_fma_f64 v[60:61], v[30:31], s[26:27], -v[60:61]
	v_mul_f64 v[64:65], v[28:29], s[48:49]
	v_mul_f64 v[28:29], v[28:29], s[42:43]
	v_add_f64 v[20:21], v[20:21], -v[32:33]
	v_add_f64 v[58:59], v[58:59], v[66:67]
	v_add_f64 v[60:61], v[60:61], v[100:101]
	v_fma_f64 v[66:67], s[20:21], v[30:31], v[64:65]
	v_fma_f64 v[64:65], v[30:31], s[20:21], -v[64:65]
	v_fma_f64 v[100:101], s[8:9], v[30:31], v[28:29]
	v_fma_f64 v[28:29], v[30:31], s[8:9], -v[28:29]
	v_add_f64 v[22:23], v[22:23], v[34:35]
	v_mul_f64 v[30:31], v[20:21], s[12:13]
	v_fma_f64 v[32:33], s[14:15], v[22:23], v[30:31]
	v_fma_f64 v[30:31], v[22:23], s[14:15], -v[30:31]
	v_mul_f64 v[34:35], v[20:21], s[46:47]
	v_add_f64 v[28:29], v[28:29], v[36:37]
	v_add_f64 v[30:31], v[30:31], v[38:39]
	v_fma_f64 v[36:37], s[26:27], v[22:23], v[34:35]
	v_fma_f64 v[34:35], v[22:23], s[26:27], -v[34:35]
	v_mul_f64 v[38:39], v[20:21], s[42:43]
	v_add_f64 v[32:33], v[32:33], v[40:41]
	v_add_f64 v[34:35], v[34:35], v[42:43]
	v_fma_f64 v[40:41], s[8:9], v[22:23], v[38:39]
	v_fma_f64 v[38:39], v[22:23], s[8:9], -v[38:39]
	v_mul_f64 v[42:43], v[20:21], s[38:39]
	v_add_f64 v[36:37], v[36:37], v[46:47]
	v_add_f64 v[38:39], v[38:39], v[48:49]
	v_fma_f64 v[46:47], s[6:7], v[22:23], v[42:43]
	v_fma_f64 v[42:43], v[22:23], s[6:7], -v[42:43]
	v_mul_f64 v[48:49], v[20:21], s[30:31]
	s_mov_b32 s39, 0x3fefdd0d
	s_mov_b32 s38, s28
	v_add_f64 v[40:41], v[40:41], v[50:51]
	v_add_f64 v[42:43], v[42:43], v[52:53]
	v_fma_f64 v[50:51], s[34:35], v[22:23], v[48:49]
	v_fma_f64 v[48:49], v[22:23], s[34:35], -v[48:49]
	v_mul_f64 v[52:53], v[20:21], s[38:39]
	v_add_f64 v[46:47], v[46:47], v[54:55]
	v_add_f64 v[48:49], v[48:49], v[56:57]
	v_fma_f64 v[54:55], s[0:1], v[22:23], v[52:53]
	v_fma_f64 v[52:53], v[22:23], s[0:1], -v[52:53]
	v_mul_f64 v[56:57], v[20:21], s[16:17]
	v_mul_f64 v[20:21], v[20:21], s[18:19]
	v_add_f64 v[12:13], v[12:13], -v[24:25]
	v_add_f64 v[50:51], v[50:51], v[58:59]
	v_add_f64 v[52:53], v[52:53], v[60:61]
	v_fma_f64 v[58:59], s[10:11], v[22:23], v[56:57]
	v_fma_f64 v[56:57], v[22:23], s[10:11], -v[56:57]
	v_fma_f64 v[60:61], s[20:21], v[22:23], v[20:21]
	v_fma_f64 v[20:21], v[22:23], s[20:21], -v[20:21]
	v_add_f64 v[14:15], v[14:15], v[26:27]
	v_mul_f64 v[22:23], v[12:13], s[18:19]
	v_fma_f64 v[24:25], s[20:21], v[14:15], v[22:23]
	v_fma_f64 v[22:23], v[14:15], s[20:21], -v[22:23]
	v_mul_f64 v[26:27], v[12:13], s[44:45]
	v_add_f64 v[20:21], v[20:21], v[28:29]
	v_add_f64 v[22:23], v[22:23], v[30:31]
	v_fma_f64 v[28:29], s[14:15], v[14:15], v[26:27]
	v_fma_f64 v[26:27], v[14:15], s[14:15], -v[26:27]
	v_mul_f64 v[30:31], v[12:13], s[16:17]
	v_add_f64 v[24:25], v[24:25], v[32:33]
	v_add_f64 v[26:27], v[26:27], v[34:35]
	;; [unrolled: 5-line block ×5, first 2 shown]
	v_fma_f64 v[46:47], s[8:9], v[14:15], v[42:43]
	v_fma_f64 v[42:43], v[14:15], s[8:9], -v[42:43]
	v_mul_f64 v[48:49], v[12:13], s[30:31]
	v_mul_f64 v[12:13], v[12:13], s[36:37]
	v_add_f64 v[8:9], v[8:9], -v[16:17]
	v_add_f64 v[40:41], v[40:41], v[50:51]
	v_add_f64 v[42:43], v[42:43], v[52:53]
	v_fma_f64 v[50:51], s[34:35], v[14:15], v[48:49]
	v_fma_f64 v[48:49], v[14:15], s[34:35], -v[48:49]
	v_fma_f64 v[52:53], s[6:7], v[14:15], v[12:13]
	v_fma_f64 v[12:13], v[14:15], s[6:7], -v[12:13]
	v_add_f64 v[10:11], v[18:19], v[10:11]
	v_mul_f64 v[14:15], v[8:9], s[24:25]
	v_fma_f64 v[16:17], s[26:27], v[10:11], v[14:15]
	v_fma_f64 v[14:15], v[10:11], s[26:27], -v[14:15]
	v_mul_f64 v[18:19], v[8:9], s[36:37]
	v_add_f64 v[12:13], v[12:13], v[20:21]
	v_add_f64 v[14:15], v[14:15], v[22:23]
	v_fma_f64 v[20:21], s[6:7], v[10:11], v[18:19]
	v_fma_f64 v[18:19], v[10:11], s[6:7], -v[18:19]
	v_mul_f64 v[22:23], v[8:9], s[28:29]
	v_add_f64 v[16:17], v[16:17], v[24:25]
	v_add_f64 v[18:19], v[18:19], v[26:27]
	;; [unrolled: 5-line block ×4, first 2 shown]
	v_fma_f64 v[32:33], s[10:11], v[10:11], v[30:31]
	v_fma_f64 v[30:31], v[10:11], s[10:11], -v[30:31]
	v_mul_f64 v[34:35], v[8:9], s[30:31]
	v_add_f64 v[0:1], v[4:5], -v[0:1]
	v_add_f64 v[28:29], v[28:29], v[36:37]
	v_add_f64 v[30:31], v[30:31], v[38:39]
	v_fma_f64 v[36:37], s[34:35], v[10:11], v[34:35]
	v_fma_f64 v[34:35], v[10:11], s[34:35], -v[34:35]
	v_mul_f64 v[38:39], v[8:9], s[42:43]
	v_mul_f64 v[8:9], v[8:9], s[12:13]
	v_add_f64 v[2:3], v[2:3], v[6:7]
	v_mul_f64 v[4:5], v[0:1], s[30:31]
	v_add_f64 v[32:33], v[32:33], v[40:41]
	v_add_f64 v[34:35], v[34:35], v[42:43]
	v_fma_f64 v[40:41], s[8:9], v[10:11], v[38:39]
	v_fma_f64 v[38:39], v[10:11], s[8:9], -v[38:39]
	v_fma_f64 v[42:43], s[14:15], v[10:11], v[8:9]
	v_fma_f64 v[8:9], v[10:11], s[14:15], -v[8:9]
	;; [unrolled: 2-line block ×3, first 2 shown]
	v_mul_f64 v[10:11], v[0:1], s[40:41]
	v_add_f64 v[8:9], v[8:9], v[12:13]
	v_add_f64 v[4:5], v[4:5], v[14:15]
	v_fma_f64 v[12:13], s[10:11], v[2:3], v[10:11]
	v_fma_f64 v[10:11], v[2:3], s[10:11], -v[10:11]
	v_mul_f64 v[14:15], v[0:1], s[24:25]
	v_add_f64 v[110:111], v[110:111], v[118:119]
	v_add_f64 v[114:115], v[114:115], v[122:123]
	v_add_f64 v[112:113], v[112:113], v[120:121]
	v_add_f64 v[116:117], v[116:117], v[124:125]
	v_add_f64 v[6:7], v[6:7], v[16:17]
	v_add_f64 v[10:11], v[10:11], v[18:19]
	v_fma_f64 v[16:17], s[26:27], v[2:3], v[14:15]
	v_fma_f64 v[14:15], v[2:3], s[26:27], -v[14:15]
	v_mul_f64 v[18:19], v[0:1], s[42:43]
	v_add_f64 v[102:103], v[102:103], v[110:111]
	v_add_f64 v[106:107], v[106:107], v[114:115]
	v_add_f64 v[104:105], v[104:105], v[112:113]
	v_add_f64 v[108:109], v[108:109], v[116:117]
	;; [unrolled: 9-line block ×4, first 2 shown]
	v_add_f64 v[20:21], v[20:21], v[28:29]
	v_add_f64 v[22:23], v[22:23], v[30:31]
	v_fma_f64 v[28:29], s[6:7], v[2:3], v[26:27]
	v_fma_f64 v[26:27], v[2:3], s[6:7], -v[26:27]
	v_mul_f64 v[30:31], v[0:1], s[12:13]
	v_mul_f64 v[0:1], v[0:1], s[38:39]
	v_add_f64 v[46:47], v[46:47], v[54:55]
	v_add_f64 v[50:51], v[50:51], v[58:59]
	;; [unrolled: 1-line block ×6, first 2 shown]
	v_fma_f64 v[32:33], s[14:15], v[2:3], v[30:31]
	v_fma_f64 v[30:31], v[2:3], s[14:15], -v[30:31]
	v_fma_f64 v[34:35], s[0:1], v[2:3], v[0:1]
	v_fma_f64 v[0:1], v[2:3], s[0:1], -v[0:1]
	v_lshlrev_b32_e32 v2, 7, v88
	v_add_f64 v[36:37], v[36:37], v[46:47]
	v_add_f64 v[40:41], v[40:41], v[50:51]
	v_add_f64 v[38:39], v[38:39], v[48:49]
	v_add_f64 v[42:43], v[42:43], v[52:53]
	v_add3_u32 v2, v98, v2, v89
	v_add_f64 v[28:29], v[28:29], v[36:37]
	v_add_f64 v[32:33], v[32:33], v[40:41]
	;; [unrolled: 1-line block ×5, first 2 shown]
	ds_write2_b64 v2, v[94:95], v[6:7] offset1:1
	ds_write2_b64 v2, v[12:13], v[16:17] offset0:2 offset1:3
	ds_write2_b64 v2, v[20:21], v[24:25] offset0:4 offset1:5
	;; [unrolled: 1-line block ×7, first 2 shown]
	ds_write_b64 v2, v[4:5] offset:128
.LBB0_14:
	s_or_b64 exec, exec, s[2:3]
	s_waitcnt vmcnt(7)
	v_mul_u32_u24_e32 v0, 3, v88
	v_lshlrev_b32_e32 v12, 4, v0
	s_waitcnt vmcnt(5)
	v_add_u32_e32 v26, 34, v88
	s_movk_i32 s0, 0xf1
	s_waitcnt lgkmcnt(0)
	s_barrier
	global_load_dwordx4 v[0:3], v12, s[4:5]
	global_load_dwordx4 v[4:7], v12, s[4:5] offset:16
	global_load_dwordx4 v[8:11], v12, s[4:5] offset:32
	v_mul_lo_u16_sdwa v12, v26, s0 dst_sel:DWORD dst_unused:UNUSED_PAD src0_sel:BYTE_0 src1_sel:DWORD
	v_lshrrev_b16_e32 v12, 12, v12
	v_mul_lo_u16_e32 v12, 17, v12
	v_mov_b32_e32 v27, 3
	v_sub_u16_e32 v98, v26, v12
	v_mul_u32_u24_sdwa v12, v98, v27 dst_sel:DWORD dst_unused:UNUSED_PAD src0_sel:BYTE_0 src1_sel:DWORD
	v_lshlrev_b32_e32 v24, 4, v12
	global_load_dwordx4 v[12:15], v24, s[4:5]
	global_load_dwordx4 v[16:19], v24, s[4:5] offset:16
	global_load_dwordx4 v[20:23], v24, s[4:5] offset:32
	ds_read2_b64 v[28:31], v97 offset0:51 offset1:68
	s_waitcnt vmcnt(10)
	ds_read2_b64 v[32:35], v97 offset0:85 offset1:102
	ds_read2_b64 v[36:39], v97 offset0:153 offset1:170
	;; [unrolled: 1-line block ×3, first 2 shown]
	s_waitcnt vmcnt(9)
	ds_read2_b64 v[46:49], v97 offset0:119 offset1:136
	ds_read_b64 v[24:25], v96
	ds_read_b64 v[50:51], v97 offset:1496
	s_waitcnt lgkmcnt(0)
	s_barrier
	s_waitcnt vmcnt(5)
	v_mul_f64 v[52:53], v[28:29], v[2:3]
	v_mul_f64 v[54:55], v[84:85], v[2:3]
	s_waitcnt vmcnt(4)
	v_mul_f64 v[56:57], v[34:35], v[6:7]
	v_mul_f64 v[58:59], v[74:75], v[6:7]
	;; [unrolled: 3-line block ×3, first 2 shown]
	v_mul_f64 v[64:65], v[30:31], v[2:3]
	v_mul_f64 v[2:3], v[86:87], v[2:3]
	;; [unrolled: 1-line block ×6, first 2 shown]
	v_fmac_f64_e32 v[2:3], v[30:31], v[0:1]
	v_fmac_f64_e32 v[6:7], v[46:47], v[4:5]
	;; [unrolled: 1-line block ×3, first 2 shown]
	v_add_f64 v[6:7], v[40:41], -v[6:7]
	v_add_f64 v[10:11], v[2:3], -v[10:11]
	v_fma_f64 v[52:53], v[84:85], v[0:1], -v[52:53]
	v_fmac_f64_e32 v[54:55], v[28:29], v[0:1]
	v_fma_f64 v[28:29], v[74:75], v[4:5], -v[56:57]
	v_fmac_f64_e32 v[58:59], v[34:35], v[4:5]
	;; [unrolled: 2-line block ×3, first 2 shown]
	v_fma_f64 v[36:37], v[86:87], v[0:1], -v[64:65]
	v_fma_f64 v[0:1], v[76:77], v[4:5], -v[66:67]
	v_fma_f64 v[4:5], v[82:83], v[8:9], -v[94:95]
	v_fma_f64 v[40:41], v[40:41], 2.0, -v[6:7]
	v_fma_f64 v[2:3], v[2:3], 2.0, -v[10:11]
	v_add_f64 v[8:9], v[92:93], -v[28:29]
	v_add_f64 v[28:29], v[24:25], -v[58:59]
	v_add_f64 v[30:31], v[52:53], -v[34:35]
	v_add_f64 v[4:5], v[36:37], -v[4:5]
	v_add_f64 v[56:57], v[40:41], -v[2:3]
	s_waitcnt vmcnt(2)
	v_mul_f64 v[2:3], v[32:33], v[14:15]
	v_mul_f64 v[14:15], v[72:73], v[14:15]
	s_waitcnt vmcnt(1)
	v_mul_f64 v[58:59], v[48:49], v[18:19]
	v_mul_f64 v[18:19], v[78:79], v[18:19]
	;; [unrolled: 3-line block ×3, first 2 shown]
	v_add_f64 v[34:35], v[54:55], -v[62:63]
	v_add_f64 v[0:1], v[68:69], -v[0:1]
	v_fma_f64 v[38:39], v[92:93], 2.0, -v[8:9]
	v_fma_f64 v[46:47], v[52:53], 2.0, -v[30:31]
	v_fma_f64 v[2:3], v[72:73], v[12:13], -v[2:3]
	v_fmac_f64_e32 v[14:15], v[32:33], v[12:13]
	v_fma_f64 v[12:13], v[78:79], v[16:17], -v[58:59]
	v_fmac_f64_e32 v[18:19], v[48:49], v[16:17]
	;; [unrolled: 2-line block ×3, first 2 shown]
	v_fma_f64 v[32:33], v[40:41], 2.0, -v[56:57]
	v_add_f64 v[40:41], v[6:7], v[4:5]
	v_fma_f64 v[52:53], v[54:55], 2.0, -v[34:35]
	v_add_f64 v[34:35], v[8:9], -v[34:35]
	v_fma_f64 v[54:55], v[68:69], 2.0, -v[0:1]
	v_fma_f64 v[36:37], v[36:37], 2.0, -v[4:5]
	v_add_f64 v[46:47], v[38:39], -v[46:47]
	v_add_f64 v[10:11], v[0:1], -v[10:11]
	v_fma_f64 v[44:45], v[6:7], 2.0, -v[40:41]
	v_add_f64 v[4:5], v[70:71], -v[12:13]
	v_add_f64 v[6:7], v[42:43], -v[18:19]
	;; [unrolled: 1-line block ×4, first 2 shown]
	v_fma_f64 v[8:9], v[8:9], 2.0, -v[34:35]
	v_add_f64 v[36:37], v[54:55], -v[36:37]
	v_fma_f64 v[38:39], v[38:39], 2.0, -v[46:47]
	v_fma_f64 v[0:1], v[0:1], 2.0, -v[10:11]
	;; [unrolled: 1-line block ×8, first 2 shown]
	v_add_f64 v[2:3], v[12:13], -v[2:3]
	v_add_f64 v[42:43], v[18:19], -v[14:15]
	v_add_f64 v[14:15], v[4:5], -v[22:23]
	ds_write2_b64 v97, v[38:39], v[8:9] offset1:17
	ds_write2_b64 v97, v[46:47], v[34:35] offset0:34 offset1:51
	ds_write2_b64 v97, v[20:21], v[0:1] offset0:68 offset1:85
	;; [unrolled: 1-line block ×3, first 2 shown]
	v_lshlrev_b32_sdwa v0, v27, v98 dst_sel:DWORD dst_unused:UNUSED_PAD src0_sel:DWORD src1_sel:BYTE_0
	v_add_f64 v[52:53], v[24:25], -v[52:53]
	v_fma_f64 v[12:13], v[12:13], 2.0, -v[2:3]
	v_add_f64 v[50:51], v[6:7], v[16:17]
	v_fma_f64 v[4:5], v[4:5], 2.0, -v[14:15]
	v_add3_u32 v20, 0, v0, v89
	v_fma_f64 v[62:63], v[24:25], 2.0, -v[52:53]
	v_fma_f64 v[48:49], v[18:19], 2.0, -v[42:43]
	;; [unrolled: 1-line block ×3, first 2 shown]
	ds_write2_b64 v20, v[12:13], v[4:5] offset0:136 offset1:153
	ds_write2_b64 v20, v[2:3], v[14:15] offset0:170 offset1:187
	s_waitcnt lgkmcnt(0)
	s_barrier
	ds_read2_b64 v[4:7], v97 offset0:51 offset1:68
	ds_read2_b64 v[0:3], v97 offset0:119 offset1:136
	;; [unrolled: 1-line block ×5, first 2 shown]
	ds_read_b64 v[22:23], v96
	ds_read_b64 v[24:25], v97 offset:1496
	v_add_f64 v[30:31], v[28:29], v[30:31]
	v_fma_f64 v[28:29], v[28:29], 2.0, -v[30:31]
	s_waitcnt lgkmcnt(0)
	s_barrier
	ds_write2_b64 v97, v[62:63], v[28:29] offset1:17
	ds_write2_b64 v97, v[52:53], v[30:31] offset0:34 offset1:51
	ds_write2_b64 v97, v[32:33], v[44:45] offset0:68 offset1:85
	;; [unrolled: 1-line block ×5, first 2 shown]
	s_waitcnt lgkmcnt(0)
	s_barrier
	s_and_saveexec_b64 s[0:1], vcc
	s_cbranch_execz .LBB0_16
; %bb.15:
	v_add_u32_e32 v27, 51, v88
	v_lshlrev_b32_e32 v20, 1, v27
	v_mov_b32_e32 v21, 0
	v_lshl_add_u64 v[36:37], v[20:21], 4, s[4:5]
	v_lshlrev_b32_e32 v20, 1, v26
	v_lshlrev_b32_e32 v52, 1, v88
	global_load_dwordx4 v[28:31], v[36:37], off offset:816
	global_load_dwordx4 v[32:35], v[36:37], off offset:832
	v_lshl_add_u64 v[44:45], v[20:21], 4, s[4:5]
	v_add_u32_e32 v20, 34, v52
	global_load_dwordx4 v[36:39], v[44:45], off offset:816
	global_load_dwordx4 v[40:43], v[44:45], off offset:832
	v_lshl_add_u64 v[54:55], v[20:21], 4, s[4:5]
	global_load_dwordx4 v[44:47], v[54:55], off offset:816
	global_load_dwordx4 v[48:51], v[54:55], off offset:832
	v_mov_b32_e32 v53, v21
	v_lshl_add_u64 v[60:61], v[52:53], 4, s[4:5]
	global_load_dwordx4 v[52:55], v[60:61], off offset:816
	global_load_dwordx4 v[56:59], v[60:61], off offset:832
	ds_read2_b64 v[60:63], v97 offset0:119 offset1:136
	ds_read2_b64 v[64:67], v97 offset0:51 offset1:68
	;; [unrolled: 1-line block ×4, first 2 shown]
	ds_read_b64 v[80:81], v97 offset:1496
	ds_read2_b64 v[76:79], v97 offset0:17 offset1:34
	ds_read_b64 v[82:83], v96
	s_mov_b32 s0, 0xe8584caa
	s_mov_b32 s1, 0x3febb67a
	;; [unrolled: 1-line block ×4, first 2 shown]
	v_mov_b32_e32 v89, v21
	s_waitcnt vmcnt(7) lgkmcnt(6)
	v_mul_f64 v[84:85], v[60:61], v[30:31]
	s_waitcnt vmcnt(6) lgkmcnt(2)
	v_mul_f64 v[86:87], v[80:81], v[34:35]
	v_mul_f64 v[30:31], v[0:1], v[30:31]
	;; [unrolled: 1-line block ×3, first 2 shown]
	v_fma_f64 v[0:1], v[0:1], v[28:29], -v[84:85]
	v_fma_f64 v[24:25], v[24:25], v[32:33], -v[86:87]
	v_fmac_f64_e32 v[30:31], v[28:29], v[60:61]
	v_fmac_f64_e32 v[34:35], v[32:33], v[80:81]
	s_waitcnt vmcnt(5)
	v_mul_f64 v[28:29], v[70:71], v[38:39]
	s_waitcnt vmcnt(4)
	v_mul_f64 v[32:33], v[74:75], v[42:43]
	v_mul_f64 v[38:39], v[14:15], v[38:39]
	;; [unrolled: 1-line block ×3, first 2 shown]
	v_add_f64 v[80:81], v[30:31], v[34:35]
	v_add_f64 v[86:87], v[0:1], v[24:25]
	v_fma_f64 v[14:15], v[14:15], v[36:37], -v[28:29]
	v_fma_f64 v[94:95], v[18:19], v[40:41], -v[32:33]
	v_fmac_f64_e32 v[38:39], v[36:37], v[70:71]
	v_fmac_f64_e32 v[42:43], v[40:41], v[74:75]
	s_waitcnt vmcnt(3)
	v_mul_f64 v[18:19], v[68:69], v[46:47]
	s_waitcnt vmcnt(2)
	v_mul_f64 v[36:37], v[72:73], v[50:51]
	v_add_f64 v[60:61], v[0:1], -v[24:25]
	v_add_f64 v[84:85], v[30:31], v[64:65]
	v_add_f64 v[92:93], v[30:31], -v[34:35]
	v_add_f64 v[0:1], v[4:5], v[0:1]
	v_mul_f64 v[70:71], v[12:13], v[46:47]
	v_mul_f64 v[74:75], v[16:17], v[50:51]
	v_fma_f64 v[30:31], -0.5, v[80:81], v[64:65]
	v_fma_f64 v[28:29], -0.5, v[86:87], v[4:5]
	v_add_f64 v[4:5], v[38:39], v[42:43]
	v_fma_f64 v[64:65], v[12:13], v[44:45], -v[18:19]
	v_fma_f64 v[80:81], v[16:17], v[48:49], -v[36:37]
	v_add_f64 v[32:33], v[0:1], v[24:25]
	v_add_f64 v[0:1], v[14:15], -v[94:95]
	s_waitcnt lgkmcnt(1)
	v_add_f64 v[24:25], v[38:39], v[78:79]
	v_add_f64 v[40:41], v[14:15], v[94:95]
	v_fmac_f64_e32 v[70:71], v[44:45], v[68:69]
	v_fmac_f64_e32 v[74:75], v[48:49], v[72:73]
	v_fma_f64 v[18:19], -0.5, v[4:5], v[78:79]
	v_add_f64 v[44:45], v[64:65], v[80:81]
	v_add_f64 v[46:47], v[38:39], -v[42:43]
	v_add_f64 v[50:51], v[10:11], v[14:15]
	v_add_f64 v[38:39], v[42:43], v[24:25]
	v_fma_f64 v[16:17], -0.5, v[40:41], v[10:11]
	v_add_f64 v[10:11], v[70:71], v[74:75]
	v_fma_f64 v[42:43], s[0:1], v[0:1], v[18:19]
	v_fmac_f64_e32 v[18:19], s[2:3], v[0:1]
	v_fma_f64 v[44:45], -0.5, v[44:45], v[8:9]
	v_add_f64 v[0:1], v[70:71], -v[74:75]
	v_add_f64 v[4:5], v[64:65], -v[80:81]
	v_fma_f64 v[40:41], s[2:3], v[46:47], v[16:17]
	v_fmac_f64_e32 v[16:17], s[0:1], v[46:47]
	v_fma_f64 v[46:47], -0.5, v[10:11], v[76:77]
	v_fma_f64 v[48:49], s[2:3], v[0:1], v[44:45]
	v_fmac_f64_e32 v[44:45], s[0:1], v[0:1]
	v_add_f64 v[0:1], v[8:9], v[64:65]
	v_add_f64 v[36:37], v[50:51], v[94:95]
	v_fma_f64 v[50:51], s[0:1], v[4:5], v[46:47]
	v_fmac_f64_e32 v[46:47], s[2:3], v[4:5]
	v_add_f64 v[8:9], v[0:1], v[80:81]
	s_waitcnt vmcnt(1)
	v_mul_f64 v[0:1], v[66:67], v[54:55]
	v_mul_f64 v[4:5], v[6:7], v[54:55]
	v_fma_f64 v[14:15], s[0:1], v[60:61], v[30:31]
	v_fmac_f64_e32 v[30:31], s[2:3], v[60:61]
	v_fma_f64 v[60:61], v[6:7], v[52:53], -v[0:1]
	v_fmac_f64_e32 v[4:5], v[52:53], v[66:67]
	s_waitcnt vmcnt(0)
	v_mul_f64 v[52:53], v[2:3], v[58:59]
	v_mul_f64 v[0:1], v[62:63], v[58:59]
	v_fmac_f64_e32 v[52:53], v[56:57], v[62:63]
	v_fma_f64 v[64:65], v[2:3], v[56:57], -v[0:1]
	v_add_f64 v[2:3], v[4:5], v[52:53]
	v_add_f64 v[0:1], v[60:61], -v[64:65]
	s_waitcnt lgkmcnt(0)
	v_fma_f64 v[2:3], -0.5, v[2:3], v[82:83]
	v_add_f64 v[24:25], v[70:71], v[76:77]
	v_fma_f64 v[6:7], s[0:1], v[0:1], v[2:3]
	v_fmac_f64_e32 v[2:3], s[2:3], v[0:1]
	v_add_f64 v[0:1], v[4:5], v[82:83]
	v_add_f64 v[10:11], v[74:75], v[24:25]
	v_add_f64 v[24:25], v[0:1], v[52:53]
	v_add_f64 v[0:1], v[60:61], v[64:65]
	v_fma_f64 v[0:1], -0.5, v[0:1], v[22:23]
	v_add_f64 v[52:53], v[4:5], -v[52:53]
	v_add_f64 v[22:23], v[22:23], v[60:61]
	v_fma_f64 v[12:13], s[2:3], v[92:93], v[28:29]
	v_fmac_f64_e32 v[28:29], s[0:1], v[92:93]
	v_fma_f64 v[4:5], s[2:3], v[52:53], v[0:1]
	v_fmac_f64_e32 v[0:1], s[0:1], v[52:53]
	v_add_f64 v[22:23], v[22:23], v[64:65]
	v_lshl_add_u64 v[52:53], v[88:89], 4, v[90:91]
	s_mov_b32 s0, 0xf0f0f0f1
	global_store_dwordx4 v[52:53], v[22:25], off
	global_store_dwordx4 v[52:53], v[0:3], off offset:1088
	global_store_dwordx4 v[52:53], v[4:7], off offset:2176
	;; [unrolled: 1-line block ×5, first 2 shown]
	v_mul_hi_u32 v0, v26, s0
	v_lshrrev_b32_e32 v0, 6, v0
	v_mul_u32_u24_e32 v20, 0x88, v0
	v_lshl_add_u64 v[0:1], v[20:21], 4, v[52:53]
	global_store_dwordx4 v[0:1], v[36:39], off offset:544
	global_store_dwordx4 v[0:1], v[16:19], off offset:1632
	global_store_dwordx4 v[0:1], v[40:43], off offset:2720
	v_mul_hi_u32 v0, v27, s0
	v_lshrrev_b32_e32 v0, 6, v0
	v_mul_u32_u24_e32 v20, 0x88, v0
	v_add_f64 v[34:35], v[34:35], v[84:85]
	v_lshl_add_u64 v[0:1], v[20:21], 4, v[52:53]
	global_store_dwordx4 v[0:1], v[32:35], off offset:816
	global_store_dwordx4 v[0:1], v[28:31], off offset:1904
	;; [unrolled: 1-line block ×3, first 2 shown]
.LBB0_16:
	s_endpgm
	.section	.rodata,"a",@progbits
	.p2align	6, 0x0
	.amdhsa_kernel fft_rtc_fwd_len204_factors_17_4_3_wgs_119_tpt_17_halfLds_dp_ip_CI_unitstride_sbrr_dirReg
		.amdhsa_group_segment_fixed_size 0
		.amdhsa_private_segment_fixed_size 0
		.amdhsa_kernarg_size 88
		.amdhsa_user_sgpr_count 2
		.amdhsa_user_sgpr_dispatch_ptr 0
		.amdhsa_user_sgpr_queue_ptr 0
		.amdhsa_user_sgpr_kernarg_segment_ptr 1
		.amdhsa_user_sgpr_dispatch_id 0
		.amdhsa_user_sgpr_kernarg_preload_length 0
		.amdhsa_user_sgpr_kernarg_preload_offset 0
		.amdhsa_user_sgpr_private_segment_size 0
		.amdhsa_uses_dynamic_stack 0
		.amdhsa_enable_private_segment 0
		.amdhsa_system_sgpr_workgroup_id_x 1
		.amdhsa_system_sgpr_workgroup_id_y 0
		.amdhsa_system_sgpr_workgroup_id_z 0
		.amdhsa_system_sgpr_workgroup_info 0
		.amdhsa_system_vgpr_workitem_id 0
		.amdhsa_next_free_vgpr 148
		.amdhsa_next_free_sgpr 54
		.amdhsa_accum_offset 148
		.amdhsa_reserve_vcc 1
		.amdhsa_float_round_mode_32 0
		.amdhsa_float_round_mode_16_64 0
		.amdhsa_float_denorm_mode_32 3
		.amdhsa_float_denorm_mode_16_64 3
		.amdhsa_dx10_clamp 1
		.amdhsa_ieee_mode 1
		.amdhsa_fp16_overflow 0
		.amdhsa_tg_split 0
		.amdhsa_exception_fp_ieee_invalid_op 0
		.amdhsa_exception_fp_denorm_src 0
		.amdhsa_exception_fp_ieee_div_zero 0
		.amdhsa_exception_fp_ieee_overflow 0
		.amdhsa_exception_fp_ieee_underflow 0
		.amdhsa_exception_fp_ieee_inexact 0
		.amdhsa_exception_int_div_zero 0
	.end_amdhsa_kernel
	.text
.Lfunc_end0:
	.size	fft_rtc_fwd_len204_factors_17_4_3_wgs_119_tpt_17_halfLds_dp_ip_CI_unitstride_sbrr_dirReg, .Lfunc_end0-fft_rtc_fwd_len204_factors_17_4_3_wgs_119_tpt_17_halfLds_dp_ip_CI_unitstride_sbrr_dirReg
                                        ; -- End function
	.section	.AMDGPU.csdata,"",@progbits
; Kernel info:
; codeLenInByte = 10228
; NumSgprs: 60
; NumVgprs: 148
; NumAgprs: 0
; TotalNumVgprs: 148
; ScratchSize: 0
; MemoryBound: 1
; FloatMode: 240
; IeeeMode: 1
; LDSByteSize: 0 bytes/workgroup (compile time only)
; SGPRBlocks: 7
; VGPRBlocks: 18
; NumSGPRsForWavesPerEU: 60
; NumVGPRsForWavesPerEU: 148
; AccumOffset: 148
; Occupancy: 3
; WaveLimiterHint : 1
; COMPUTE_PGM_RSRC2:SCRATCH_EN: 0
; COMPUTE_PGM_RSRC2:USER_SGPR: 2
; COMPUTE_PGM_RSRC2:TRAP_HANDLER: 0
; COMPUTE_PGM_RSRC2:TGID_X_EN: 1
; COMPUTE_PGM_RSRC2:TGID_Y_EN: 0
; COMPUTE_PGM_RSRC2:TGID_Z_EN: 0
; COMPUTE_PGM_RSRC2:TIDIG_COMP_CNT: 0
; COMPUTE_PGM_RSRC3_GFX90A:ACCUM_OFFSET: 36
; COMPUTE_PGM_RSRC3_GFX90A:TG_SPLIT: 0
	.text
	.p2alignl 6, 3212836864
	.fill 256, 4, 3212836864
	.type	__hip_cuid_19af8df1560445f9,@object ; @__hip_cuid_19af8df1560445f9
	.section	.bss,"aw",@nobits
	.globl	__hip_cuid_19af8df1560445f9
__hip_cuid_19af8df1560445f9:
	.byte	0                               ; 0x0
	.size	__hip_cuid_19af8df1560445f9, 1

	.ident	"AMD clang version 19.0.0git (https://github.com/RadeonOpenCompute/llvm-project roc-6.4.0 25133 c7fe45cf4b819c5991fe208aaa96edf142730f1d)"
	.section	".note.GNU-stack","",@progbits
	.addrsig
	.addrsig_sym __hip_cuid_19af8df1560445f9
	.amdgpu_metadata
---
amdhsa.kernels:
  - .agpr_count:     0
    .args:
      - .actual_access:  read_only
        .address_space:  global
        .offset:         0
        .size:           8
        .value_kind:     global_buffer
      - .offset:         8
        .size:           8
        .value_kind:     by_value
      - .actual_access:  read_only
        .address_space:  global
        .offset:         16
        .size:           8
        .value_kind:     global_buffer
      - .actual_access:  read_only
        .address_space:  global
        .offset:         24
        .size:           8
        .value_kind:     global_buffer
      - .offset:         32
        .size:           8
        .value_kind:     by_value
      - .actual_access:  read_only
        .address_space:  global
        .offset:         40
        .size:           8
        .value_kind:     global_buffer
      - .actual_access:  read_only
        .address_space:  global
        .offset:         48
        .size:           8
        .value_kind:     global_buffer
      - .offset:         56
        .size:           4
        .value_kind:     by_value
      - .actual_access:  read_only
        .address_space:  global
        .offset:         64
        .size:           8
        .value_kind:     global_buffer
      - .actual_access:  read_only
        .address_space:  global
        .offset:         72
        .size:           8
        .value_kind:     global_buffer
      - .address_space:  global
        .offset:         80
        .size:           8
        .value_kind:     global_buffer
    .group_segment_fixed_size: 0
    .kernarg_segment_align: 8
    .kernarg_segment_size: 88
    .language:       OpenCL C
    .language_version:
      - 2
      - 0
    .max_flat_workgroup_size: 119
    .name:           fft_rtc_fwd_len204_factors_17_4_3_wgs_119_tpt_17_halfLds_dp_ip_CI_unitstride_sbrr_dirReg
    .private_segment_fixed_size: 0
    .sgpr_count:     60
    .sgpr_spill_count: 0
    .symbol:         fft_rtc_fwd_len204_factors_17_4_3_wgs_119_tpt_17_halfLds_dp_ip_CI_unitstride_sbrr_dirReg.kd
    .uniform_work_group_size: 1
    .uses_dynamic_stack: false
    .vgpr_count:     148
    .vgpr_spill_count: 0
    .wavefront_size: 64
amdhsa.target:   amdgcn-amd-amdhsa--gfx950
amdhsa.version:
  - 1
  - 2
...

	.end_amdgpu_metadata
